;; amdgpu-corpus repo=ROCm/rocFFT kind=compiled arch=gfx906 opt=O3
	.text
	.amdgcn_target "amdgcn-amd-amdhsa--gfx906"
	.amdhsa_code_object_version 6
	.protected	fft_rtc_fwd_len528_factors_4_4_3_11_wgs_48_tpt_48_halfLds_sp_op_CI_CI_unitstride_sbrr_C2R_dirReg ; -- Begin function fft_rtc_fwd_len528_factors_4_4_3_11_wgs_48_tpt_48_halfLds_sp_op_CI_CI_unitstride_sbrr_C2R_dirReg
	.globl	fft_rtc_fwd_len528_factors_4_4_3_11_wgs_48_tpt_48_halfLds_sp_op_CI_CI_unitstride_sbrr_C2R_dirReg
	.p2align	8
	.type	fft_rtc_fwd_len528_factors_4_4_3_11_wgs_48_tpt_48_halfLds_sp_op_CI_CI_unitstride_sbrr_C2R_dirReg,@function
fft_rtc_fwd_len528_factors_4_4_3_11_wgs_48_tpt_48_halfLds_sp_op_CI_CI_unitstride_sbrr_C2R_dirReg: ; @fft_rtc_fwd_len528_factors_4_4_3_11_wgs_48_tpt_48_halfLds_sp_op_CI_CI_unitstride_sbrr_C2R_dirReg
; %bb.0:
	s_load_dwordx4 s[8:11], s[4:5], 0x58
	s_load_dwordx4 s[12:15], s[4:5], 0x0
	;; [unrolled: 1-line block ×3, first 2 shown]
	v_mul_u32_u24_e32 v1, 0x556, v0
	v_add_u32_sdwa v5, s6, v1 dst_sel:DWORD dst_unused:UNUSED_PAD src0_sel:DWORD src1_sel:WORD_1
	v_mov_b32_e32 v3, 0
	s_waitcnt lgkmcnt(0)
	v_cmp_lt_u64_e64 s[0:1], s[14:15], 2
	v_mov_b32_e32 v1, 0
	v_mov_b32_e32 v6, v3
	s_and_b64 vcc, exec, s[0:1]
	v_mov_b32_e32 v2, 0
	s_cbranch_vccnz .LBB0_8
; %bb.1:
	s_load_dwordx2 s[0:1], s[4:5], 0x10
	s_add_u32 s2, s18, 8
	s_addc_u32 s3, s19, 0
	s_add_u32 s6, s16, 8
	v_mov_b32_e32 v1, 0
	s_addc_u32 s7, s17, 0
	v_mov_b32_e32 v2, 0
	s_waitcnt lgkmcnt(0)
	s_add_u32 s20, s0, 8
	v_mov_b32_e32 v25, v2
	s_addc_u32 s21, s1, 0
	s_mov_b64 s[22:23], 1
	v_mov_b32_e32 v24, v1
.LBB0_2:                                ; =>This Inner Loop Header: Depth=1
	s_load_dwordx2 s[24:25], s[20:21], 0x0
                                        ; implicit-def: $vgpr26_vgpr27
	s_waitcnt lgkmcnt(0)
	v_or_b32_e32 v4, s25, v6
	v_cmp_ne_u64_e32 vcc, 0, v[3:4]
	s_and_saveexec_b64 s[0:1], vcc
	s_xor_b64 s[26:27], exec, s[0:1]
	s_cbranch_execz .LBB0_4
; %bb.3:                                ;   in Loop: Header=BB0_2 Depth=1
	v_cvt_f32_u32_e32 v4, s24
	v_cvt_f32_u32_e32 v7, s25
	s_sub_u32 s0, 0, s24
	s_subb_u32 s1, 0, s25
	v_mac_f32_e32 v4, 0x4f800000, v7
	v_rcp_f32_e32 v4, v4
	v_mul_f32_e32 v4, 0x5f7ffffc, v4
	v_mul_f32_e32 v7, 0x2f800000, v4
	v_trunc_f32_e32 v7, v7
	v_mac_f32_e32 v4, 0xcf800000, v7
	v_cvt_u32_f32_e32 v7, v7
	v_cvt_u32_f32_e32 v4, v4
	v_mul_lo_u32 v8, s0, v7
	v_mul_hi_u32 v9, s0, v4
	v_mul_lo_u32 v11, s1, v4
	v_mul_lo_u32 v10, s0, v4
	v_add_u32_e32 v8, v9, v8
	v_add_u32_e32 v8, v8, v11
	v_mul_hi_u32 v9, v4, v10
	v_mul_lo_u32 v11, v4, v8
	v_mul_hi_u32 v13, v4, v8
	v_mul_hi_u32 v12, v7, v10
	v_mul_lo_u32 v10, v7, v10
	v_mul_hi_u32 v14, v7, v8
	v_add_co_u32_e32 v9, vcc, v9, v11
	v_addc_co_u32_e32 v11, vcc, 0, v13, vcc
	v_mul_lo_u32 v8, v7, v8
	v_add_co_u32_e32 v9, vcc, v9, v10
	v_addc_co_u32_e32 v9, vcc, v11, v12, vcc
	v_addc_co_u32_e32 v10, vcc, 0, v14, vcc
	v_add_co_u32_e32 v8, vcc, v9, v8
	v_addc_co_u32_e32 v9, vcc, 0, v10, vcc
	v_add_co_u32_e32 v4, vcc, v4, v8
	v_addc_co_u32_e32 v7, vcc, v7, v9, vcc
	v_mul_lo_u32 v8, s0, v7
	v_mul_hi_u32 v9, s0, v4
	v_mul_lo_u32 v10, s1, v4
	v_mul_lo_u32 v11, s0, v4
	v_add_u32_e32 v8, v9, v8
	v_add_u32_e32 v8, v8, v10
	v_mul_lo_u32 v12, v4, v8
	v_mul_hi_u32 v13, v4, v11
	v_mul_hi_u32 v14, v4, v8
	v_mul_hi_u32 v10, v7, v11
	v_mul_lo_u32 v11, v7, v11
	v_mul_hi_u32 v9, v7, v8
	v_add_co_u32_e32 v12, vcc, v13, v12
	v_addc_co_u32_e32 v13, vcc, 0, v14, vcc
	v_mul_lo_u32 v8, v7, v8
	v_add_co_u32_e32 v11, vcc, v12, v11
	v_addc_co_u32_e32 v10, vcc, v13, v10, vcc
	v_addc_co_u32_e32 v9, vcc, 0, v9, vcc
	v_add_co_u32_e32 v8, vcc, v10, v8
	v_addc_co_u32_e32 v9, vcc, 0, v9, vcc
	v_add_co_u32_e32 v4, vcc, v4, v8
	v_addc_co_u32_e32 v9, vcc, v7, v9, vcc
	v_mad_u64_u32 v[7:8], s[0:1], v5, v9, 0
	v_mul_hi_u32 v10, v5, v4
	v_add_co_u32_e32 v11, vcc, v10, v7
	v_addc_co_u32_e32 v12, vcc, 0, v8, vcc
	v_mad_u64_u32 v[7:8], s[0:1], v6, v4, 0
	v_mad_u64_u32 v[9:10], s[0:1], v6, v9, 0
	v_add_co_u32_e32 v4, vcc, v11, v7
	v_addc_co_u32_e32 v4, vcc, v12, v8, vcc
	v_addc_co_u32_e32 v7, vcc, 0, v10, vcc
	v_add_co_u32_e32 v4, vcc, v4, v9
	v_addc_co_u32_e32 v9, vcc, 0, v7, vcc
	v_mul_lo_u32 v10, s25, v4
	v_mul_lo_u32 v11, s24, v9
	v_mad_u64_u32 v[7:8], s[0:1], s24, v4, 0
	v_add3_u32 v8, v8, v11, v10
	v_sub_u32_e32 v10, v6, v8
	v_mov_b32_e32 v11, s25
	v_sub_co_u32_e32 v7, vcc, v5, v7
	v_subb_co_u32_e64 v10, s[0:1], v10, v11, vcc
	v_subrev_co_u32_e64 v11, s[0:1], s24, v7
	v_subbrev_co_u32_e64 v10, s[0:1], 0, v10, s[0:1]
	v_cmp_le_u32_e64 s[0:1], s25, v10
	v_cndmask_b32_e64 v12, 0, -1, s[0:1]
	v_cmp_le_u32_e64 s[0:1], s24, v11
	v_cndmask_b32_e64 v11, 0, -1, s[0:1]
	v_cmp_eq_u32_e64 s[0:1], s25, v10
	v_cndmask_b32_e64 v10, v12, v11, s[0:1]
	v_add_co_u32_e64 v11, s[0:1], 2, v4
	v_addc_co_u32_e64 v12, s[0:1], 0, v9, s[0:1]
	v_add_co_u32_e64 v13, s[0:1], 1, v4
	v_addc_co_u32_e64 v14, s[0:1], 0, v9, s[0:1]
	v_subb_co_u32_e32 v8, vcc, v6, v8, vcc
	v_cmp_ne_u32_e64 s[0:1], 0, v10
	v_cmp_le_u32_e32 vcc, s25, v8
	v_cndmask_b32_e64 v10, v14, v12, s[0:1]
	v_cndmask_b32_e64 v12, 0, -1, vcc
	v_cmp_le_u32_e32 vcc, s24, v7
	v_cndmask_b32_e64 v7, 0, -1, vcc
	v_cmp_eq_u32_e32 vcc, s25, v8
	v_cndmask_b32_e32 v7, v12, v7, vcc
	v_cmp_ne_u32_e32 vcc, 0, v7
	v_cndmask_b32_e64 v7, v13, v11, s[0:1]
	v_cndmask_b32_e32 v27, v9, v10, vcc
	v_cndmask_b32_e32 v26, v4, v7, vcc
.LBB0_4:                                ;   in Loop: Header=BB0_2 Depth=1
	s_andn2_saveexec_b64 s[0:1], s[26:27]
	s_cbranch_execz .LBB0_6
; %bb.5:                                ;   in Loop: Header=BB0_2 Depth=1
	v_cvt_f32_u32_e32 v4, s24
	s_sub_i32 s26, 0, s24
	v_mov_b32_e32 v27, v3
	v_rcp_iflag_f32_e32 v4, v4
	v_mul_f32_e32 v4, 0x4f7ffffe, v4
	v_cvt_u32_f32_e32 v4, v4
	v_mul_lo_u32 v7, s26, v4
	v_mul_hi_u32 v7, v4, v7
	v_add_u32_e32 v4, v4, v7
	v_mul_hi_u32 v4, v5, v4
	v_mul_lo_u32 v7, v4, s24
	v_add_u32_e32 v8, 1, v4
	v_sub_u32_e32 v7, v5, v7
	v_subrev_u32_e32 v9, s24, v7
	v_cmp_le_u32_e32 vcc, s24, v7
	v_cndmask_b32_e32 v7, v7, v9, vcc
	v_cndmask_b32_e32 v4, v4, v8, vcc
	v_add_u32_e32 v8, 1, v4
	v_cmp_le_u32_e32 vcc, s24, v7
	v_cndmask_b32_e32 v26, v4, v8, vcc
.LBB0_6:                                ;   in Loop: Header=BB0_2 Depth=1
	s_or_b64 exec, exec, s[0:1]
	v_mul_lo_u32 v4, v27, s24
	v_mul_lo_u32 v9, v26, s25
	v_mad_u64_u32 v[7:8], s[0:1], v26, s24, 0
	s_load_dwordx2 s[0:1], s[6:7], 0x0
	s_load_dwordx2 s[24:25], s[2:3], 0x0
	v_add3_u32 v4, v8, v9, v4
	v_sub_co_u32_e32 v5, vcc, v5, v7
	v_subb_co_u32_e32 v4, vcc, v6, v4, vcc
	s_waitcnt lgkmcnt(0)
	v_mul_lo_u32 v6, s0, v4
	v_mul_lo_u32 v7, s1, v5
	v_mad_u64_u32 v[1:2], s[0:1], s0, v5, v[1:2]
	v_mul_lo_u32 v4, s24, v4
	v_mul_lo_u32 v8, s25, v5
	v_mad_u64_u32 v[24:25], s[0:1], s24, v5, v[24:25]
	s_add_u32 s22, s22, 1
	s_addc_u32 s23, s23, 0
	s_add_u32 s2, s2, 8
	v_add3_u32 v25, v8, v25, v4
	s_addc_u32 s3, s3, 0
	v_mov_b32_e32 v4, s14
	s_add_u32 s6, s6, 8
	v_mov_b32_e32 v5, s15
	s_addc_u32 s7, s7, 0
	v_cmp_ge_u64_e32 vcc, s[22:23], v[4:5]
	s_add_u32 s20, s20, 8
	v_add3_u32 v2, v7, v2, v6
	s_addc_u32 s21, s21, 0
	s_cbranch_vccnz .LBB0_9
; %bb.7:                                ;   in Loop: Header=BB0_2 Depth=1
	v_mov_b32_e32 v5, v26
	v_mov_b32_e32 v6, v27
	s_branch .LBB0_2
.LBB0_8:
	v_mov_b32_e32 v25, v2
	v_mov_b32_e32 v27, v6
	;; [unrolled: 1-line block ×4, first 2 shown]
.LBB0_9:
	s_load_dwordx2 s[4:5], s[4:5], 0x28
	s_lshl_b64 s[6:7], s[14:15], 3
	s_add_u32 s2, s18, s6
	s_addc_u32 s3, s19, s7
                                        ; implicit-def: $vgpr28
	s_waitcnt lgkmcnt(0)
	v_cmp_gt_u64_e64 s[0:1], s[4:5], v[26:27]
	v_cmp_le_u64_e32 vcc, s[4:5], v[26:27]
	s_and_saveexec_b64 s[4:5], vcc
	s_xor_b64 s[4:5], exec, s[4:5]
; %bb.10:
	s_mov_b32 s14, 0x5555556
	v_mul_hi_u32 v1, v0, s14
	v_mul_u32_u24_e32 v1, 48, v1
	v_sub_u32_e32 v28, v0, v1
                                        ; implicit-def: $vgpr0
                                        ; implicit-def: $vgpr1_vgpr2
; %bb.11:
	s_or_saveexec_b64 s[4:5], s[4:5]
	s_load_dwordx2 s[2:3], s[2:3], 0x0
	s_xor_b64 exec, exec, s[4:5]
	s_cbranch_execz .LBB0_15
; %bb.12:
	s_add_u32 s6, s16, s6
	s_addc_u32 s7, s17, s7
	s_load_dwordx2 s[6:7], s[6:7], 0x0
	s_mov_b32 s14, 0x5555556
	v_mul_hi_u32 v5, v0, s14
	v_lshlrev_b64 v[1:2], 3, v[1:2]
	s_waitcnt lgkmcnt(0)
	v_mul_lo_u32 v6, s7, v26
	v_mul_lo_u32 v7, s6, v27
	v_mad_u64_u32 v[3:4], s[6:7], s6, v26, 0
	v_mul_u32_u24_e32 v5, 48, v5
	v_sub_u32_e32 v28, v0, v5
	v_add3_u32 v4, v4, v7, v6
	v_lshlrev_b64 v[3:4], 3, v[3:4]
	v_mov_b32_e32 v0, s9
	v_add_co_u32_e32 v3, vcc, s8, v3
	v_addc_co_u32_e32 v0, vcc, v0, v4, vcc
	v_add_co_u32_e32 v1, vcc, v3, v1
	v_addc_co_u32_e32 v0, vcc, v0, v2, vcc
	v_lshlrev_b32_e32 v31, 3, v28
	v_add_co_u32_e32 v2, vcc, v1, v31
	v_addc_co_u32_e32 v3, vcc, 0, v0, vcc
	global_load_dwordx2 v[4:5], v[2:3], off
	global_load_dwordx2 v[6:7], v[2:3], off offset:384
	global_load_dwordx2 v[8:9], v[2:3], off offset:768
	;; [unrolled: 1-line block ×10, first 2 shown]
	v_add_u32_e32 v2, 0, v31
	v_cmp_eq_u32_e32 vcc, 47, v28
	v_add_u32_e32 v3, 0x800, v2
	s_waitcnt vmcnt(9)
	ds_write2_b64 v2, v[4:5], v[6:7] offset1:48
	s_waitcnt vmcnt(7)
	ds_write2_b64 v2, v[8:9], v[10:11] offset0:96 offset1:144
	s_waitcnt vmcnt(5)
	ds_write2_b64 v2, v[12:13], v[14:15] offset0:192 offset1:240
	;; [unrolled: 2-line block ×4, first 2 shown]
	s_waitcnt vmcnt(0)
	ds_write_b64 v2, v[29:30] offset:3840
	s_and_saveexec_b64 s[6:7], vcc
	s_cbranch_execz .LBB0_14
; %bb.13:
	v_add_co_u32_e32 v1, vcc, 0x1000, v1
	v_addc_co_u32_e32 v2, vcc, 0, v0, vcc
	global_load_dwordx2 v[0:1], v[1:2], off offset:128
	v_mov_b32_e32 v2, 0
	v_mov_b32_e32 v28, 47
	s_waitcnt vmcnt(0)
	ds_write_b64 v2, v[0:1] offset:4224
.LBB0_14:
	s_or_b64 exec, exec, s[6:7]
.LBB0_15:
	s_or_b64 exec, exec, s[4:5]
	v_lshlrev_b32_e32 v0, 3, v28
	v_add_u32_e32 v33, 0, v0
	s_waitcnt lgkmcnt(0)
	; wave barrier
	s_waitcnt lgkmcnt(0)
	v_sub_u32_e32 v4, 0, v0
	ds_read_b32 v1, v33
	ds_read_b32 v2, v4 offset:4224
	s_add_u32 s6, s12, 0x1060
	s_addc_u32 s7, s13, 0
	v_cmp_ne_u32_e32 vcc, 0, v28
	s_waitcnt lgkmcnt(0)
	v_add_f32_e32 v0, v2, v1
	v_sub_f32_e32 v1, v1, v2
                                        ; implicit-def: $vgpr2_vgpr3
	s_and_saveexec_b64 s[4:5], vcc
	s_xor_b64 s[4:5], exec, s[4:5]
	s_cbranch_execz .LBB0_17
; %bb.16:
	v_mov_b32_e32 v29, 0
	v_lshlrev_b64 v[2:3], 3, v[28:29]
	v_mov_b32_e32 v5, s7
	v_add_co_u32_e32 v2, vcc, s6, v2
	v_addc_co_u32_e32 v3, vcc, v5, v3, vcc
	global_load_dwordx2 v[2:3], v[2:3], off
	ds_read_b32 v5, v4 offset:4228
	ds_read_b32 v6, v33 offset:4
	s_waitcnt lgkmcnt(0)
	v_add_f32_e32 v9, v5, v6
	v_sub_f32_e32 v5, v6, v5
	s_waitcnt vmcnt(0)
	v_fma_f32 v10, v1, v3, v0
	v_fma_f32 v6, v9, v3, v5
	v_fma_f32 v7, -v1, v3, v0
	v_fma_f32 v8, v9, v3, -v5
	v_fma_f32 v5, -v2, v9, v10
	v_fmac_f32_e32 v6, v1, v2
	v_fmac_f32_e32 v7, v2, v9
	;; [unrolled: 1-line block ×3, first 2 shown]
	v_mov_b32_e32 v2, v28
	ds_write_b64 v33, v[5:6]
	ds_write_b64 v4, v[7:8] offset:4224
	v_mov_b32_e32 v3, v29
                                        ; implicit-def: $vgpr0
.LBB0_17:
	s_andn2_saveexec_b64 s[4:5], s[4:5]
	s_cbranch_execz .LBB0_19
; %bb.18:
	ds_write_b64 v33, v[0:1]
	v_mov_b32_e32 v5, 0
	ds_read_b64 v[0:1], v5 offset:2112
	v_mov_b32_e32 v2, 0
	v_mov_b32_e32 v3, 0
	s_waitcnt lgkmcnt(0)
	v_add_f32_e32 v0, v0, v0
	v_mul_f32_e32 v1, -2.0, v1
	ds_write_b64 v5, v[0:1] offset:2112
.LBB0_19:
	s_or_b64 exec, exec, s[4:5]
	v_lshlrev_b64 v[0:1], 3, v[2:3]
	v_mov_b32_e32 v2, s7
	v_add_co_u32_e32 v0, vcc, s6, v0
	v_addc_co_u32_e32 v1, vcc, v2, v1, vcc
	global_load_dwordx2 v[2:3], v[0:1], off offset:384
	global_load_dwordx2 v[5:6], v[0:1], off offset:768
	;; [unrolled: 1-line block ×4, first 2 shown]
	ds_read_b64 v[11:12], v33 offset:384
	ds_read_b64 v[13:14], v4 offset:3840
	v_cmp_gt_u32_e32 vcc, 24, v28
	s_waitcnt lgkmcnt(0)
	v_add_f32_e32 v15, v11, v13
	v_add_f32_e32 v16, v14, v12
	v_sub_f32_e32 v17, v11, v13
	v_sub_f32_e32 v13, v12, v14
	s_waitcnt vmcnt(3)
	v_fma_f32 v18, v17, v3, v15
	v_fma_f32 v14, v16, v3, v13
	v_fma_f32 v11, -v17, v3, v15
	v_fma_f32 v12, v16, v3, -v13
	v_fma_f32 v13, -v2, v16, v18
	v_fmac_f32_e32 v14, v17, v2
	v_fmac_f32_e32 v11, v2, v16
	v_fmac_f32_e32 v12, v17, v2
	ds_write_b64 v33, v[13:14] offset:384
	ds_write_b64 v4, v[11:12] offset:3840
	ds_read_b64 v[2:3], v33 offset:768
	ds_read_b64 v[11:12], v4 offset:3456
	s_waitcnt lgkmcnt(0)
	v_add_f32_e32 v13, v2, v11
	v_add_f32_e32 v14, v12, v3
	v_sub_f32_e32 v15, v2, v11
	v_sub_f32_e32 v2, v3, v12
	s_waitcnt vmcnt(2)
	v_fma_f32 v16, v15, v6, v13
	v_fma_f32 v3, v14, v6, v2
	v_fma_f32 v11, -v15, v6, v13
	v_fma_f32 v12, v14, v6, -v2
	v_fma_f32 v2, -v5, v14, v16
	v_fmac_f32_e32 v3, v15, v5
	v_fmac_f32_e32 v11, v5, v14
	v_fmac_f32_e32 v12, v15, v5
	ds_write_b64 v33, v[2:3] offset:768
	ds_write_b64 v4, v[11:12] offset:3456
	ds_read_b64 v[2:3], v33 offset:1152
	ds_read_b64 v[5:6], v4 offset:3072
	;; [unrolled: 18-line block ×3, first 2 shown]
	s_waitcnt lgkmcnt(0)
	v_add_f32_e32 v7, v2, v5
	v_add_f32_e32 v8, v6, v3
	v_sub_f32_e32 v11, v2, v5
	v_sub_f32_e32 v2, v3, v6
	s_waitcnt vmcnt(0)
	v_fma_f32 v12, v11, v10, v7
	v_fma_f32 v3, v8, v10, v2
	v_fma_f32 v5, -v11, v10, v7
	v_fma_f32 v6, v8, v10, -v2
	v_fma_f32 v2, -v9, v8, v12
	v_fmac_f32_e32 v3, v11, v9
	v_fmac_f32_e32 v5, v9, v8
	;; [unrolled: 1-line block ×3, first 2 shown]
	ds_write_b64 v33, v[2:3] offset:1536
	ds_write_b64 v4, v[5:6] offset:2688
	s_and_saveexec_b64 s[4:5], vcc
	s_cbranch_execz .LBB0_21
; %bb.20:
	global_load_dwordx2 v[0:1], v[0:1], off offset:1920
	ds_read_b64 v[2:3], v33 offset:1920
	ds_read_b64 v[5:6], v4 offset:2304
	s_waitcnt lgkmcnt(0)
	v_add_f32_e32 v7, v2, v5
	v_add_f32_e32 v8, v6, v3
	v_sub_f32_e32 v9, v2, v5
	v_sub_f32_e32 v3, v3, v6
	s_waitcnt vmcnt(0)
	v_fma_f32 v10, v9, v1, v7
	v_fma_f32 v2, v8, v1, v3
	v_fma_f32 v5, -v9, v1, v7
	v_fma_f32 v6, v8, v1, -v3
	v_fma_f32 v1, -v0, v8, v10
	v_fmac_f32_e32 v2, v9, v0
	v_fmac_f32_e32 v5, v0, v8
	;; [unrolled: 1-line block ×3, first 2 shown]
	ds_write_b64 v33, v[1:2] offset:1920
	ds_write_b64 v4, v[5:6] offset:2304
.LBB0_21:
	s_or_b64 exec, exec, s[4:5]
	v_add_u32_e32 v12, 0x800, v33
	s_waitcnt lgkmcnt(0)
	; wave barrier
	s_waitcnt lgkmcnt(0)
	s_waitcnt lgkmcnt(0)
	; wave barrier
	s_waitcnt lgkmcnt(0)
	ds_read2_b64 v[0:3], v33 offset1:48
	ds_read2_b64 v[4:7], v12 offset0:8 offset1:56
	ds_read2_b64 v[8:11], v33 offset0:96 offset1:132
	;; [unrolled: 1-line block ×3, first 2 shown]
	v_mad_u32_u24 v23, v28, 24, v33
	v_add_u32_e32 v35, 48, v28
	v_add_u32_e32 v34, 0x60, v28
	s_waitcnt lgkmcnt(2)
	v_sub_f32_e32 v17, v0, v4
	v_sub_f32_e32 v18, v1, v5
	s_waitcnt lgkmcnt(0)
	v_sub_f32_e32 v15, v10, v15
	v_sub_f32_e32 v16, v11, v16
	v_fma_f32 v4, v0, 2.0, -v17
	v_fma_f32 v5, v1, 2.0, -v18
	;; [unrolled: 1-line block ×4, first 2 shown]
	v_sub_f32_e32 v10, v17, v16
	v_add_f32_e32 v11, v18, v15
	v_fma_f32 v29, v17, 2.0, -v10
	v_fma_f32 v30, v18, 2.0, -v11
	ds_read2_b64 v[15:18], v33 offset0:180 offset1:228
	ds_read2_b64 v[19:22], v12 offset0:188 offset1:236
	v_sub_f32_e32 v0, v4, v0
	v_sub_f32_e32 v1, v5, v1
	v_fma_f32 v4, v4, 2.0, -v0
	v_fma_f32 v5, v5, 2.0, -v1
	s_waitcnt lgkmcnt(0)
	; wave barrier
	s_waitcnt lgkmcnt(0)
	ds_write2_b64 v23, v[4:5], v[29:30] offset1:1
	ds_write2_b64 v23, v[0:1], v[10:11] offset0:2 offset1:3
	v_sub_f32_e32 v4, v2, v6
	v_sub_f32_e32 v5, v3, v7
	v_fma_f32 v0, v2, 2.0, -v4
	v_fma_f32 v1, v3, 2.0, -v5
	v_sub_f32_e32 v2, v15, v19
	v_sub_f32_e32 v3, v16, v20
	v_fma_f32 v6, v15, 2.0, -v2
	v_fma_f32 v7, v16, 2.0, -v3
	v_sub_f32_e32 v10, v0, v6
	v_sub_f32_e32 v11, v1, v7
	;; [unrolled: 1-line block ×3, first 2 shown]
	v_add_f32_e32 v16, v5, v2
	v_fma_f32 v0, v0, 2.0, -v10
	v_fma_f32 v1, v1, 2.0, -v11
	;; [unrolled: 1-line block ×4, first 2 shown]
	v_lshl_add_u32 v19, v35, 5, 0
	ds_write2_b64 v19, v[0:1], v[2:3] offset1:1
	v_sub_f32_e32 v2, v8, v13
	v_sub_f32_e32 v3, v9, v14
	;; [unrolled: 1-line block ×4, first 2 shown]
	v_fma_f32 v0, v8, 2.0, -v2
	v_fma_f32 v1, v9, 2.0, -v3
	v_fma_f32 v4, v17, 2.0, -v7
	v_fma_f32 v5, v18, 2.0, -v6
	v_sub_f32_e32 v4, v0, v4
	v_sub_f32_e32 v5, v1, v5
	;; [unrolled: 1-line block ×3, first 2 shown]
	v_add_f32_e32 v7, v3, v7
	v_fma_f32 v0, v0, 2.0, -v4
	v_fma_f32 v1, v1, 2.0, -v5
	;; [unrolled: 1-line block ×4, first 2 shown]
	v_cmp_gt_u32_e32 vcc, 36, v28
	ds_write2_b64 v19, v[10:11], v[15:16] offset0:2 offset1:3
	s_and_saveexec_b64 s[4:5], vcc
	s_cbranch_execz .LBB0_23
; %bb.22:
	v_lshl_add_u32 v8, v34, 5, 0
	ds_write2_b64 v8, v[0:1], v[2:3] offset1:1
	ds_write2_b64 v8, v[4:5], v[6:7] offset0:2 offset1:3
.LBB0_23:
	s_or_b64 exec, exec, s[4:5]
	s_waitcnt lgkmcnt(0)
	; wave barrier
	s_waitcnt lgkmcnt(0)
	ds_read2_b64 v[8:11], v33 offset1:48
	ds_read2_b64 v[20:23], v33 offset0:132 offset1:180
	ds_read2_b64 v[16:19], v12 offset0:8 offset1:56
	;; [unrolled: 1-line block ×3, first 2 shown]
	v_lshlrev_b32_e32 v31, 2, v35
	s_and_saveexec_b64 s[4:5], vcc
	s_cbranch_execz .LBB0_25
; %bb.24:
	v_add_u32_e32 v4, 0x800, v33
	ds_read2_b64 v[0:3], v33 offset0:96 offset1:228
	ds_read2_b64 v[4:7], v4 offset0:104 offset1:236
.LBB0_25:
	s_or_b64 exec, exec, s[4:5]
	v_and_b32_e32 v32, 3, v28
	v_mul_u32_u24_e32 v29, 3, v32
	v_lshlrev_b32_e32 v40, 3, v29
	global_load_dwordx4 v[36:39], v40, s[12:13]
	global_load_dwordx2 v[29:30], v40, s[12:13] offset:16
	v_lshlrev_b32_e32 v40, 2, v28
	s_movk_i32 s4, 0xf0
	s_waitcnt lgkmcnt(0)
	; wave barrier
	s_waitcnt vmcnt(1) lgkmcnt(0)
	v_mul_f32_e32 v41, v37, v21
	v_mul_f32_e32 v42, v37, v20
	v_mul_f32_e32 v45, v39, v17
	v_mul_f32_e32 v46, v39, v16
	v_mul_f32_e32 v47, v39, v19
	v_mul_f32_e32 v48, v39, v18
	s_waitcnt vmcnt(0)
	v_mul_f32_e32 v49, v30, v13
	v_mul_f32_e32 v50, v30, v12
	;; [unrolled: 1-line block ×12, first 2 shown]
	v_fma_f32 v20, v36, v20, -v41
	v_fmac_f32_e32 v42, v36, v21
	v_fma_f32 v16, v38, v16, -v45
	v_fmac_f32_e32 v46, v38, v17
	;; [unrolled: 2-line block ×4, first 2 shown]
	v_fma_f32 v13, v29, v14, -v51
	v_fma_f32 v6, v6, v29, -v53
	v_fmac_f32_e32 v30, v7, v29
	v_fma_f32 v4, v4, v38, -v54
	v_fmac_f32_e32 v39, v5, v38
	;; [unrolled: 2-line block ×3, first 2 shown]
	v_sub_f32_e32 v3, v8, v16
	v_sub_f32_e32 v14, v9, v46
	;; [unrolled: 1-line block ×6, first 2 shown]
	v_fma_f32 v21, v36, v22, -v43
	v_fmac_f32_e32 v44, v36, v23
	v_fmac_f32_e32 v52, v29, v15
	v_sub_f32_e32 v18, v0, v4
	v_sub_f32_e32 v19, v1, v39
	v_sub_f32_e32 v15, v2, v6
	v_sub_f32_e32 v22, v37, v30
	v_fma_f32 v23, v8, 2.0, -v3
	v_fma_f32 v36, v9, 2.0, -v14
	;; [unrolled: 1-line block ×6, first 2 shown]
	v_sub_f32_e32 v12, v21, v13
	v_sub_f32_e32 v13, v44, v52
	v_sub_f32_e32 v6, v3, v7
	v_add_f32_e32 v7, v14, v5
	v_fma_f32 v4, v0, 2.0, -v18
	v_fma_f32 v5, v1, 2.0, -v19
	;; [unrolled: 1-line block ×4, first 2 shown]
	v_sub_f32_e32 v29, v18, v22
	v_add_f32_e32 v30, v19, v15
	v_sub_f32_e32 v10, v23, v10
	v_sub_f32_e32 v11, v36, v11
	v_and_or_b32 v22, v40, s4, v32
	v_fma_f32 v20, v21, 2.0, -v12
	v_fma_f32 v21, v44, 2.0, -v13
	v_sub_f32_e32 v8, v16, v13
	v_add_f32_e32 v9, v17, v12
	v_fma_f32 v12, v3, 2.0, -v6
	v_fma_f32 v13, v14, 2.0, -v7
	v_sub_f32_e32 v2, v4, v0
	v_sub_f32_e32 v3, v5, v1
	v_fma_f32 v0, v18, 2.0, -v29
	v_fma_f32 v1, v19, 2.0, -v30
	;; [unrolled: 1-line block ×4, first 2 shown]
	v_lshl_add_u32 v22, v22, 3, 0
	s_movk_i32 s4, 0x1f0
	v_sub_f32_e32 v14, v38, v20
	v_sub_f32_e32 v15, v39, v21
	ds_write2_b64 v22, v[18:19], v[12:13] offset1:4
	ds_write2_b64 v22, v[10:11], v[6:7] offset0:8 offset1:12
	v_and_or_b32 v6, v31, s4, v32
	v_fma_f32 v16, v16, 2.0, -v8
	v_fma_f32 v17, v17, 2.0, -v9
	;; [unrolled: 1-line block ×4, first 2 shown]
	v_lshl_add_u32 v6, v6, 3, 0
	ds_write2_b64 v6, v[20:21], v[16:17] offset1:4
	ds_write2_b64 v6, v[14:15], v[8:9] offset0:8 offset1:12
	s_and_saveexec_b64 s[4:5], vcc
	s_cbranch_execz .LBB0_27
; %bb.26:
	v_lshlrev_b32_e32 v6, 2, v34
	s_movk_i32 s6, 0x3f0
	v_and_or_b32 v6, v6, s6, v32
	v_fma_f32 v5, v5, 2.0, -v3
	v_fma_f32 v4, v4, 2.0, -v2
	v_lshl_add_u32 v6, v6, 3, 0
	ds_write2_b64 v6, v[4:5], v[0:1] offset1:4
	ds_write2_b64 v6, v[2:3], v[29:30] offset0:8 offset1:12
.LBB0_27:
	s_or_b64 exec, exec, s[4:5]
	v_add_u32_e32 v12, 0x800, v33
	s_waitcnt lgkmcnt(0)
	; wave barrier
	s_waitcnt lgkmcnt(0)
	ds_read2_b64 v[8:11], v33 offset1:48
	ds_read2_b64 v[4:7], v33 offset0:96 offset1:176
	ds_read2_b64 v[20:23], v12 offset0:96 offset1:144
	v_add_u32_e32 v12, 0x400, v33
	ds_read2_b64 v[16:19], v12 offset0:96 offset1:144
	ds_read_b64 v[31:32], v33 offset:3584
	v_cmp_gt_u32_e32 vcc, 32, v28
	s_and_saveexec_b64 s[4:5], vcc
	s_cbranch_execz .LBB0_29
; %bb.28:
	ds_read2_b64 v[0:3], v12 offset0:16 offset1:192
	ds_read_b64 v[29:30], v33 offset:3968
.LBB0_29:
	s_or_b64 exec, exec, s[4:5]
	v_and_b32_e32 v36, 15, v28
	v_lshlrev_b32_e32 v12, 4, v36
	global_load_dwordx4 v[12:15], v12, s[12:13] offset:96
	v_lshrrev_b32_e32 v37, 4, v28
	v_lshrrev_b32_e32 v35, 4, v35
	v_mul_u32_u24_e32 v37, 48, v37
	v_mul_u32_u24_e32 v35, 48, v35
	v_or_b32_e32 v37, v37, v36
	v_or_b32_e32 v35, v35, v36
	v_lshl_add_u32 v37, v37, 3, 0
	s_waitcnt lgkmcnt(0)
	; wave barrier
	s_waitcnt lgkmcnt(0)
	v_lshl_add_u32 v35, v35, 3, 0
	s_waitcnt vmcnt(0)
	v_mul_f32_e32 v38, v13, v7
	v_mul_f32_e32 v39, v13, v6
	;; [unrolled: 1-line block ×10, first 2 shown]
	v_fma_f32 v20, v14, v20, -v40
	v_fmac_f32_e32 v41, v14, v21
	v_fma_f32 v21, v14, v22, -v44
	v_fmac_f32_e32 v45, v14, v23
	;; [unrolled: 2-line block ×4, first 2 shown]
	v_mul_f32_e32 v46, v13, v19
	v_mul_f32_e32 v48, v15, v32
	v_fmac_f32_e32 v47, v12, v19
	v_fmac_f32_e32 v49, v14, v32
	v_add_f32_e32 v19, v6, v20
	v_add_f32_e32 v23, v39, v41
	;; [unrolled: 1-line block ×3, first 2 shown]
	v_sub_f32_e32 v40, v43, v45
	v_add_f32_e32 v42, v11, v43
	v_add_f32_e32 v43, v43, v45
	v_fma_f32 v16, v12, v18, -v46
	v_fma_f32 v18, v14, v31, -v48
	v_add_f32_e32 v17, v6, v8
	v_sub_f32_e32 v38, v39, v41
	v_add_f32_e32 v22, v39, v9
	v_sub_f32_e32 v39, v6, v20
	v_add_f32_e32 v31, v10, v7
	v_fma_f32 v8, -0.5, v19, v8
	v_fma_f32 v9, -0.5, v23, v9
	;; [unrolled: 1-line block ×3, first 2 shown]
	v_fmac_f32_e32 v11, -0.5, v43
	v_sub_f32_e32 v44, v7, v21
	v_add_f32_e32 v46, v4, v16
	v_add_f32_e32 v48, v16, v18
	v_sub_f32_e32 v52, v16, v18
	v_add_f32_e32 v6, v17, v20
	v_add_f32_e32 v7, v22, v41
	;; [unrolled: 1-line block ×3, first 2 shown]
	v_mov_b32_e32 v20, v8
	v_fmac_f32_e32 v8, 0xbf5db3d7, v38
	v_mov_b32_e32 v21, v9
	v_fmac_f32_e32 v9, 0x3f5db3d7, v39
	v_mov_b32_e32 v22, v10
	v_mov_b32_e32 v23, v11
	v_sub_f32_e32 v50, v47, v49
	v_add_f32_e32 v51, v5, v47
	v_add_f32_e32 v47, v47, v49
	;; [unrolled: 1-line block ×3, first 2 shown]
	v_fmac_f32_e32 v10, 0xbf5db3d7, v40
	v_fmac_f32_e32 v11, 0x3f5db3d7, v44
	;; [unrolled: 1-line block ×6, first 2 shown]
	ds_write_b64 v37, v[8:9] offset:256
	ds_write2_b64 v37, v[6:7], v[20:21] offset1:16
	ds_write2_b64 v35, v[16:17], v[22:23] offset1:16
	ds_write_b64 v35, v[10:11] offset:256
	v_lshrrev_b32_e32 v6, 4, v34
	v_fma_f32 v4, -0.5, v48, v4
	v_fmac_f32_e32 v5, -0.5, v47
	v_mul_u32_u24_e32 v6, 48, v6
	v_mov_b32_e32 v31, v4
	v_mov_b32_e32 v32, v5
	v_or_b32_e32 v6, v6, v36
	v_add_f32_e32 v18, v46, v18
	v_add_f32_e32 v19, v51, v49
	v_fmac_f32_e32 v31, 0x3f5db3d7, v50
	v_fmac_f32_e32 v32, 0xbf5db3d7, v52
	v_lshl_add_u32 v6, v6, 3, 0
	v_fmac_f32_e32 v4, 0xbf5db3d7, v50
	v_fmac_f32_e32 v5, 0x3f5db3d7, v52
	ds_write2_b64 v6, v[18:19], v[31:32] offset1:16
	ds_write_b64 v6, v[4:5] offset:256
	s_and_saveexec_b64 s[4:5], vcc
	s_cbranch_execz .LBB0_31
; %bb.30:
	v_mul_f32_e32 v8, v2, v13
	v_fmac_f32_e32 v8, v3, v12
	v_mul_f32_e32 v3, v3, v13
	v_fma_f32 v2, v2, v12, -v3
	v_mul_f32_e32 v3, v30, v15
	v_mul_f32_e32 v9, v29, v15
	v_fma_f32 v10, v29, v14, -v3
	v_add_u32_e32 v7, 0x90, v28
	v_fmac_f32_e32 v9, v30, v14
	v_add_f32_e32 v3, v2, v10
	v_add_f32_e32 v4, v8, v9
	v_sub_f32_e32 v11, v2, v10
	v_fma_f32 v3, -0.5, v3, v0
	v_add_f32_e32 v0, v0, v2
	v_lshrrev_b32_e32 v2, 4, v7
	v_fma_f32 v4, -0.5, v4, v1
	v_mul_u32_u24_e32 v2, 48, v2
	v_mov_b32_e32 v6, v4
	v_sub_f32_e32 v12, v8, v9
	v_mov_b32_e32 v5, v3
	v_add_f32_e32 v1, v1, v8
	v_or_b32_e32 v2, v2, v36
	v_fmac_f32_e32 v6, 0xbf5db3d7, v11
	v_fmac_f32_e32 v5, 0x3f5db3d7, v12
	v_add_f32_e32 v1, v1, v9
	v_add_f32_e32 v0, v0, v10
	v_lshl_add_u32 v2, v2, 3, 0
	v_fmac_f32_e32 v4, 0x3f5db3d7, v11
	v_fmac_f32_e32 v3, 0xbf5db3d7, v12
	ds_write2_b64 v2, v[0:1], v[5:6] offset1:16
	ds_write_b64 v2, v[3:4] offset:256
.LBB0_31:
	s_or_b64 exec, exec, s[4:5]
	v_mul_u32_u24_e32 v0, 10, v28
	v_lshlrev_b32_e32 v0, 3, v0
	s_waitcnt lgkmcnt(0)
	; wave barrier
	s_waitcnt lgkmcnt(0)
	global_load_dwordx4 v[1:4], v0, s[12:13] offset:352
	global_load_dwordx4 v[5:8], v0, s[12:13] offset:368
	;; [unrolled: 1-line block ×5, first 2 shown]
	v_add_u32_e32 v0, 0x800, v33
	ds_read2_b64 v[29:32], v33 offset1:48
	ds_read2_b64 v[34:37], v33 offset0:96 offset1:144
	ds_read2_b64 v[38:41], v33 offset0:192 offset1:240
	ds_read_b64 v[21:22], v33 offset:3840
	ds_read2_b64 v[42:45], v0 offset0:32 offset1:80
	ds_read2_b64 v[46:49], v0 offset0:128 offset1:176
	s_mov_b32 s5, 0x3f575c64
	s_mov_b32 s4, 0x3ed4b147
	;; [unrolled: 1-line block ×5, first 2 shown]
	s_waitcnt lgkmcnt(0)
	; wave barrier
	s_waitcnt vmcnt(4) lgkmcnt(0)
	v_mul_f32_e32 v23, v2, v32
	v_mul_f32_e32 v2, v2, v31
	s_waitcnt vmcnt(3)
	v_mul_f32_e32 v51, v6, v37
	v_mul_f32_e32 v6, v6, v36
	;; [unrolled: 1-line block ×6, first 2 shown]
	s_waitcnt vmcnt(2)
	v_mul_f32_e32 v53, v10, v41
	v_mul_f32_e32 v10, v10, v40
	;; [unrolled: 1-line block ×4, first 2 shown]
	s_waitcnt vmcnt(1)
	v_mul_f32_e32 v55, v45, v14
	v_mul_f32_e32 v14, v44, v14
	v_fma_f32 v23, v1, v31, -v23
	v_fmac_f32_e32 v2, v1, v32
	v_mul_f32_e32 v1, v47, v16
	v_fma_f32 v32, v5, v36, -v51
	v_fmac_f32_e32 v6, v5, v37
	s_waitcnt vmcnt(0)
	v_mul_f32_e32 v5, v22, v20
	v_mul_f32_e32 v20, v21, v20
	v_fma_f32 v31, v3, v34, -v50
	v_fmac_f32_e32 v4, v3, v35
	v_mul_f32_e32 v3, v46, v16
	v_mul_f32_e32 v16, v49, v18
	v_fma_f32 v34, v7, v38, -v52
	v_fmac_f32_e32 v8, v7, v39
	v_fma_f32 v7, v9, v40, -v53
	v_fmac_f32_e32 v10, v9, v41
	;; [unrolled: 2-line block ×4, first 2 shown]
	v_fma_f32 v13, v46, v15, -v1
	v_fma_f32 v1, v21, v19, -v5
	v_fmac_f32_e32 v20, v22, v19
	v_fmac_f32_e32 v3, v47, v15
	v_fma_f32 v15, v48, v17, -v16
	v_sub_f32_e32 v16, v2, v20
	v_sub_f32_e32 v19, v23, v1
	v_mul_f32_e32 v18, v48, v18
	v_add_f32_e32 v5, v23, v1
	v_mul_f32_e32 v21, 0xbf0a6770, v16
	v_mul_f32_e32 v22, 0xbf68dda4, v16
	;; [unrolled: 1-line block ×10, first 2 shown]
	v_fmac_f32_e32 v18, v49, v17
	v_add_f32_e32 v17, v2, v20
	v_fma_f32 v39, v5, s5, -v21
	v_fmac_f32_e32 v21, 0x3f575c64, v5
	v_fma_f32 v40, v5, s4, -v22
	v_fmac_f32_e32 v22, 0x3ed4b147, v5
	;; [unrolled: 2-line block ×5, first 2 shown]
	v_mov_b32_e32 v5, v37
	v_mov_b32_e32 v44, v38
	;; [unrolled: 1-line block ×5, first 2 shown]
	v_add_f32_e32 v2, v2, v30
	v_fma_f32 v37, v17, s5, -v37
	v_fma_f32 v38, v17, s4, -v38
	v_fmac_f32_e32 v5, 0x3f575c64, v17
	v_fmac_f32_e32 v44, 0x3ed4b147, v17
	;; [unrolled: 1-line block ×3, first 2 shown]
	v_fma_f32 v45, v17, s6, -v45
	v_fmac_f32_e32 v48, 0xbf27a4f4, v17
	v_fma_f32 v47, v17, s7, -v47
	v_fmac_f32_e32 v49, 0xbf75a155, v17
	v_fma_f32 v17, v17, s8, -v19
	v_add_f32_e32 v19, v23, v29
	v_add_f32_e32 v2, v2, v4
	;; [unrolled: 1-line block ×19, first 2 shown]
	v_sub_f32_e32 v4, v4, v18
	v_add_f32_e32 v1, v19, v1
	v_add_f32_e32 v19, v31, v15
	v_mul_f32_e32 v18, 0xbf68dda4, v4
	v_add_f32_e32 v23, v39, v29
	v_add_f32_e32 v21, v21, v29
	;; [unrolled: 1-line block ×10, first 2 shown]
	v_sub_f32_e32 v15, v31, v15
	v_fma_f32 v29, v19, s4, -v18
	v_add_f32_e32 v23, v29, v23
	v_mul_f32_e32 v29, 0xbf68dda4, v15
	v_add_f32_e32 v37, v37, v30
	v_add_f32_e32 v5, v5, v30
	;; [unrolled: 1-line block ×10, first 2 shown]
	v_mov_b32_e32 v30, v29
	v_fmac_f32_e32 v18, 0x3ed4b147, v19
	v_fmac_f32_e32 v30, 0x3ed4b147, v20
	v_add_f32_e32 v18, v18, v21
	v_fma_f32 v21, v20, s4, -v29
	v_mul_f32_e32 v29, 0xbf4178ce, v4
	v_add_f32_e32 v5, v30, v5
	v_fma_f32 v30, v19, s7, -v29
	v_mul_f32_e32 v31, 0xbf4178ce, v15
	v_fmac_f32_e32 v29, 0xbf27a4f4, v19
	v_add_f32_e32 v21, v21, v37
	v_mov_b32_e32 v37, v31
	v_add_f32_e32 v22, v29, v22
	v_fma_f32 v29, v20, s7, -v31
	v_mul_f32_e32 v31, 0x3e903f40, v4
	v_add_f32_e32 v30, v30, v39
	v_fmac_f32_e32 v37, 0xbf27a4f4, v20
	v_add_f32_e32 v29, v29, v38
	v_fma_f32 v38, v19, s8, -v31
	v_mul_f32_e32 v39, 0x3e903f40, v15
	v_fmac_f32_e32 v31, 0xbf75a155, v19
	v_add_f32_e32 v37, v37, v40
	v_mov_b32_e32 v40, v39
	v_add_f32_e32 v31, v31, v35
	v_fma_f32 v35, v20, s8, -v39
	v_mul_f32_e32 v39, 0x3f7d64f0, v4
	v_add_f32_e32 v38, v38, v41
	v_fma_f32 v41, v19, s6, -v39
	v_fmac_f32_e32 v40, 0xbf75a155, v20
	v_add_f32_e32 v41, v41, v42
	v_mul_f32_e32 v42, 0x3f7d64f0, v15
	v_fmac_f32_e32 v39, 0xbe11bafb, v19
	v_mul_f32_e32 v4, 0x3f0a6770, v4
	v_add_f32_e32 v40, v40, v44
	v_mov_b32_e32 v44, v42
	v_add_f32_e32 v36, v39, v36
	v_fma_f32 v39, v20, s6, -v42
	v_fma_f32 v42, v19, s5, -v4
	v_mul_f32_e32 v15, 0x3f0a6770, v15
	v_add_f32_e32 v42, v42, v43
	v_mov_b32_e32 v43, v15
	v_fma_f32 v15, v20, s5, -v15
	v_fmac_f32_e32 v4, 0x3f575c64, v19
	v_add_f32_e32 v15, v15, v17
	v_add_f32_e32 v17, v6, v3
	v_sub_f32_e32 v3, v6, v3
	v_add_f32_e32 v4, v4, v16
	v_add_f32_e32 v16, v32, v13
	v_sub_f32_e32 v13, v32, v13
	v_mul_f32_e32 v6, 0xbf7d64f0, v3
	v_fmac_f32_e32 v44, 0xbe11bafb, v20
	v_fmac_f32_e32 v43, 0x3f575c64, v20
	v_fma_f32 v19, v16, s6, -v6
	v_mul_f32_e32 v20, 0xbf7d64f0, v13
	v_add_f32_e32 v19, v19, v23
	v_mov_b32_e32 v23, v20
	v_fmac_f32_e32 v6, 0xbe11bafb, v16
	v_fmac_f32_e32 v23, 0xbe11bafb, v17
	v_add_f32_e32 v6, v6, v18
	v_fma_f32 v18, v17, s6, -v20
	v_mul_f32_e32 v20, 0x3e903f40, v3
	v_add_f32_e32 v5, v23, v5
	v_add_f32_e32 v18, v18, v21
	v_fma_f32 v21, v16, s8, -v20
	v_mul_f32_e32 v23, 0x3e903f40, v13
	v_fmac_f32_e32 v20, 0xbf75a155, v16
	v_add_f32_e32 v21, v21, v30
	v_mov_b32_e32 v30, v23
	v_add_f32_e32 v20, v20, v22
	v_fma_f32 v22, v17, s8, -v23
	v_mul_f32_e32 v23, 0x3f68dda4, v3
	v_fmac_f32_e32 v30, 0xbf75a155, v17
	v_add_f32_e32 v22, v22, v29
	v_fma_f32 v29, v16, s4, -v23
	v_mul_f32_e32 v32, 0x3f68dda4, v13
	v_fmac_f32_e32 v23, 0x3ed4b147, v16
	v_add_f32_e32 v35, v35, v45
	v_add_f32_e32 v30, v30, v37
	v_mov_b32_e32 v37, v32
	v_add_f32_e32 v23, v23, v31
	v_fma_f32 v31, v17, s4, -v32
	v_mul_f32_e32 v32, 0xbf0a6770, v3
	v_add_f32_e32 v29, v29, v38
	v_fmac_f32_e32 v37, 0x3ed4b147, v17
	v_add_f32_e32 v31, v31, v35
	v_fma_f32 v35, v16, s5, -v32
	v_mul_f32_e32 v38, 0xbf0a6770, v13
	v_fmac_f32_e32 v32, 0x3f575c64, v16
	v_mul_f32_e32 v3, 0xbf4178ce, v3
	v_add_f32_e32 v37, v37, v40
	v_mov_b32_e32 v40, v38
	v_add_f32_e32 v32, v32, v36
	v_fma_f32 v36, v17, s5, -v38
	v_fma_f32 v38, v16, s7, -v3
	v_mul_f32_e32 v13, 0xbf4178ce, v13
	v_fmac_f32_e32 v3, 0xbf27a4f4, v16
	v_add_f32_e32 v3, v3, v4
	v_fma_f32 v4, v17, s7, -v13
	v_add_f32_e32 v39, v39, v47
	v_add_f32_e32 v4, v4, v15
	;; [unrolled: 1-line block ×3, first 2 shown]
	v_sub_f32_e32 v8, v8, v14
	v_add_f32_e32 v36, v36, v39
	v_mov_b32_e32 v39, v13
	v_add_f32_e32 v13, v34, v11
	v_sub_f32_e32 v11, v34, v11
	v_mul_f32_e32 v14, 0xbf4178ce, v8
	v_fmac_f32_e32 v40, 0x3f575c64, v17
	v_fmac_f32_e32 v39, 0xbf27a4f4, v17
	v_fma_f32 v16, v13, s7, -v14
	v_mul_f32_e32 v17, 0xbf4178ce, v11
	v_add_f32_e32 v16, v16, v19
	v_mov_b32_e32 v19, v17
	v_fmac_f32_e32 v14, 0xbf27a4f4, v13
	v_fmac_f32_e32 v19, 0xbf27a4f4, v15
	v_add_f32_e32 v6, v14, v6
	v_fma_f32 v14, v15, s7, -v17
	v_mul_f32_e32 v17, 0x3f7d64f0, v8
	v_add_f32_e32 v5, v19, v5
	v_add_f32_e32 v14, v14, v18
	v_fma_f32 v18, v13, s6, -v17
	v_mul_f32_e32 v19, 0x3f7d64f0, v11
	v_fmac_f32_e32 v17, 0xbe11bafb, v13
	v_add_f32_e32 v18, v18, v21
	v_mov_b32_e32 v21, v19
	v_add_f32_e32 v17, v17, v20
	v_fma_f32 v19, v15, s6, -v19
	v_mul_f32_e32 v20, 0xbf0a6770, v8
	v_add_f32_e32 v19, v19, v22
	v_fma_f32 v22, v13, s5, -v20
	v_fmac_f32_e32 v21, 0xbe11bafb, v15
	v_add_f32_e32 v22, v22, v29
	v_mul_f32_e32 v29, 0xbf0a6770, v11
	v_fmac_f32_e32 v20, 0x3f575c64, v13
	v_add_f32_e32 v21, v21, v30
	v_mov_b32_e32 v30, v29
	v_add_f32_e32 v20, v20, v23
	v_fma_f32 v23, v15, s5, -v29
	v_mul_f32_e32 v29, 0xbe903f40, v8
	v_add_f32_e32 v23, v23, v31
	v_fma_f32 v31, v13, s8, -v29
	v_mul_f32_e32 v34, 0xbe903f40, v11
	v_fmac_f32_e32 v29, 0xbf75a155, v13
	v_add_f32_e32 v35, v35, v41
	v_add_f32_e32 v29, v29, v32
	v_fma_f32 v32, v15, s8, -v34
	v_mul_f32_e32 v8, 0x3f68dda4, v8
	v_mul_f32_e32 v11, 0x3f68dda4, v11
	v_add_f32_e32 v44, v44, v46
	v_add_f32_e32 v43, v43, v48
	v_fmac_f32_e32 v30, 0x3f575c64, v15
	v_add_f32_e32 v31, v31, v35
	v_mov_b32_e32 v35, v34
	v_add_f32_e32 v32, v32, v36
	v_fma_f32 v34, v13, s4, -v8
	v_mov_b32_e32 v36, v11
	v_fmac_f32_e32 v8, 0x3ed4b147, v13
	v_sub_f32_e32 v41, v7, v9
	v_add_f32_e32 v40, v40, v44
	v_add_f32_e32 v38, v38, v42
	;; [unrolled: 1-line block ×4, first 2 shown]
	v_fmac_f32_e32 v35, 0xbf75a155, v15
	v_fmac_f32_e32 v36, 0x3ed4b147, v15
	v_add_f32_e32 v37, v8, v3
	v_fma_f32 v3, v15, s4, -v11
	v_sub_f32_e32 v42, v10, v12
	v_mul_f32_e32 v8, 0xbe903f40, v41
	v_add_f32_e32 v35, v35, v40
	v_add_f32_e32 v34, v34, v38
	;; [unrolled: 1-line block ×6, first 2 shown]
	v_mul_f32_e32 v7, 0xbe903f40, v42
	v_mov_b32_e32 v4, v8
	v_fma_f32 v3, v39, s8, -v7
	v_fmac_f32_e32 v4, 0xbf75a155, v40
	v_fmac_f32_e32 v7, 0xbf75a155, v39
	v_mul_f32_e32 v9, 0x3f0a6770, v42
	v_mul_f32_e32 v10, 0x3f0a6770, v41
	v_mul_f32_e32 v13, 0xbf4178ce, v42
	v_add_f32_e32 v4, v4, v5
	v_add_f32_e32 v5, v7, v6
	v_fma_f32 v6, v40, s8, -v8
	v_fma_f32 v7, v39, s5, -v9
	v_mov_b32_e32 v8, v10
	v_fma_f32 v11, v39, s7, -v13
	v_add_f32_e32 v6, v6, v14
	v_add_f32_e32 v7, v7, v18
	v_fmac_f32_e32 v8, 0x3f575c64, v40
	v_fmac_f32_e32 v9, 0x3f575c64, v39
	v_add_f32_e32 v11, v11, v22
	v_mul_f32_e32 v14, 0xbf4178ce, v41
	v_fmac_f32_e32 v13, 0xbf27a4f4, v39
	v_mul_f32_e32 v18, 0x3f68dda4, v41
	v_mul_f32_e32 v22, 0xbf7d64f0, v41
	v_add_f32_e32 v3, v3, v16
	v_add_f32_e32 v8, v8, v21
	;; [unrolled: 1-line block ×3, first 2 shown]
	v_fma_f32 v10, v40, s5, -v10
	v_mov_b32_e32 v12, v14
	v_add_f32_e32 v13, v13, v20
	v_mul_f32_e32 v17, 0x3f68dda4, v42
	v_mov_b32_e32 v16, v18
	v_mul_f32_e32 v21, 0xbf7d64f0, v42
	v_mov_b32_e32 v20, v22
	v_add_f32_e32 v10, v10, v19
	v_fmac_f32_e32 v12, 0xbf27a4f4, v40
	v_fma_f32 v14, v40, s7, -v14
	v_fma_f32 v15, v39, s4, -v17
	v_fmac_f32_e32 v16, 0x3ed4b147, v40
	v_fmac_f32_e32 v17, 0x3ed4b147, v39
	v_fma_f32 v18, v40, s4, -v18
	v_fma_f32 v19, v39, s6, -v21
	v_fmac_f32_e32 v20, 0xbe11bafb, v40
	v_fmac_f32_e32 v21, 0xbe11bafb, v39
	v_fma_f32 v22, v40, s6, -v22
	v_add_f32_e32 v12, v12, v30
	v_add_f32_e32 v14, v14, v23
	;; [unrolled: 1-line block ×10, first 2 shown]
	ds_write2_b64 v33, v[1:2], v[3:4] offset1:48
	ds_write2_b64 v33, v[7:8], v[11:12] offset0:96 offset1:144
	ds_write2_b64 v33, v[15:16], v[19:20] offset0:192 offset1:240
	;; [unrolled: 1-line block ×4, first 2 shown]
	ds_write_b64 v33, v[5:6] offset:3840
	s_waitcnt lgkmcnt(0)
	; wave barrier
	s_waitcnt lgkmcnt(0)
	s_and_saveexec_b64 s[4:5], s[0:1]
	s_cbranch_execz .LBB0_33
; %bb.32:
	v_mul_lo_u32 v0, s3, v26
	v_mul_lo_u32 v1, s2, v27
	v_mad_u64_u32 v[4:5], s[0:1], s2, v26, 0
	v_mov_b32_e32 v7, s11
	v_lshl_add_u32 v6, v28, 3, 0
	v_add3_u32 v5, v5, v1, v0
	v_lshlrev_b64 v[4:5], 3, v[4:5]
	v_mov_b32_e32 v29, 0
	v_add_co_u32_e32 v8, vcc, s10, v4
	v_addc_co_u32_e32 v7, vcc, v7, v5, vcc
	v_lshlrev_b64 v[4:5], 3, v[24:25]
	ds_read2_b64 v[0:3], v6 offset1:48
	v_add_co_u32_e32 v8, vcc, v8, v4
	v_addc_co_u32_e32 v7, vcc, v7, v5, vcc
	v_lshlrev_b64 v[4:5], 3, v[28:29]
	v_add_u32_e32 v9, 0x800, v6
	v_add_co_u32_e32 v4, vcc, v8, v4
	v_addc_co_u32_e32 v5, vcc, v7, v5, vcc
	s_waitcnt lgkmcnt(0)
	global_store_dwordx2 v[4:5], v[0:1], off
	v_add_u32_e32 v0, 48, v28
	v_mov_b32_e32 v1, v29
	v_lshlrev_b64 v[0:1], 3, v[0:1]
	v_add_u32_e32 v4, 0x60, v28
	v_add_co_u32_e32 v0, vcc, v8, v0
	v_addc_co_u32_e32 v1, vcc, v7, v1, vcc
	global_store_dwordx2 v[0:1], v[2:3], off
	v_mov_b32_e32 v5, v29
	ds_read2_b64 v[0:3], v6 offset0:96 offset1:144
	v_lshlrev_b64 v[4:5], 3, v[4:5]
	v_add_co_u32_e32 v4, vcc, v8, v4
	v_addc_co_u32_e32 v5, vcc, v7, v5, vcc
	s_waitcnt lgkmcnt(0)
	global_store_dwordx2 v[4:5], v[0:1], off
	v_add_u32_e32 v0, 0x90, v28
	v_mov_b32_e32 v1, v29
	v_lshlrev_b64 v[0:1], 3, v[0:1]
	v_add_u32_e32 v4, 0xc0, v28
	v_add_co_u32_e32 v0, vcc, v8, v0
	v_addc_co_u32_e32 v1, vcc, v7, v1, vcc
	global_store_dwordx2 v[0:1], v[2:3], off
	v_mov_b32_e32 v5, v29
	ds_read2_b64 v[0:3], v6 offset0:192 offset1:240
	v_lshlrev_b64 v[4:5], 3, v[4:5]
	;; [unrolled: 14-line block ×4, first 2 shown]
	v_add_co_u32_e32 v4, vcc, v8, v4
	v_addc_co_u32_e32 v5, vcc, v7, v5, vcc
	s_waitcnt lgkmcnt(0)
	global_store_dwordx2 v[4:5], v[0:1], off
	v_add_u32_e32 v0, 0x1b0, v28
	v_mov_b32_e32 v1, v29
	v_lshlrev_b64 v[0:1], 3, v[0:1]
	v_add_u32_e32 v28, 0x1e0, v28
	v_add_co_u32_e32 v0, vcc, v8, v0
	v_addc_co_u32_e32 v1, vcc, v7, v1, vcc
	global_store_dwordx2 v[0:1], v[2:3], off
	ds_read_b64 v[0:1], v6 offset:3840
	v_lshlrev_b64 v[2:3], 3, v[28:29]
	v_add_co_u32_e32 v2, vcc, v8, v2
	v_addc_co_u32_e32 v3, vcc, v7, v3, vcc
	s_waitcnt lgkmcnt(0)
	global_store_dwordx2 v[2:3], v[0:1], off
.LBB0_33:
	s_endpgm
	.section	.rodata,"a",@progbits
	.p2align	6, 0x0
	.amdhsa_kernel fft_rtc_fwd_len528_factors_4_4_3_11_wgs_48_tpt_48_halfLds_sp_op_CI_CI_unitstride_sbrr_C2R_dirReg
		.amdhsa_group_segment_fixed_size 0
		.amdhsa_private_segment_fixed_size 0
		.amdhsa_kernarg_size 104
		.amdhsa_user_sgpr_count 6
		.amdhsa_user_sgpr_private_segment_buffer 1
		.amdhsa_user_sgpr_dispatch_ptr 0
		.amdhsa_user_sgpr_queue_ptr 0
		.amdhsa_user_sgpr_kernarg_segment_ptr 1
		.amdhsa_user_sgpr_dispatch_id 0
		.amdhsa_user_sgpr_flat_scratch_init 0
		.amdhsa_user_sgpr_private_segment_size 0
		.amdhsa_uses_dynamic_stack 0
		.amdhsa_system_sgpr_private_segment_wavefront_offset 0
		.amdhsa_system_sgpr_workgroup_id_x 1
		.amdhsa_system_sgpr_workgroup_id_y 0
		.amdhsa_system_sgpr_workgroup_id_z 0
		.amdhsa_system_sgpr_workgroup_info 0
		.amdhsa_system_vgpr_workitem_id 0
		.amdhsa_next_free_vgpr 56
		.amdhsa_next_free_sgpr 28
		.amdhsa_reserve_vcc 1
		.amdhsa_reserve_flat_scratch 0
		.amdhsa_float_round_mode_32 0
		.amdhsa_float_round_mode_16_64 0
		.amdhsa_float_denorm_mode_32 3
		.amdhsa_float_denorm_mode_16_64 3
		.amdhsa_dx10_clamp 1
		.amdhsa_ieee_mode 1
		.amdhsa_fp16_overflow 0
		.amdhsa_exception_fp_ieee_invalid_op 0
		.amdhsa_exception_fp_denorm_src 0
		.amdhsa_exception_fp_ieee_div_zero 0
		.amdhsa_exception_fp_ieee_overflow 0
		.amdhsa_exception_fp_ieee_underflow 0
		.amdhsa_exception_fp_ieee_inexact 0
		.amdhsa_exception_int_div_zero 0
	.end_amdhsa_kernel
	.text
.Lfunc_end0:
	.size	fft_rtc_fwd_len528_factors_4_4_3_11_wgs_48_tpt_48_halfLds_sp_op_CI_CI_unitstride_sbrr_C2R_dirReg, .Lfunc_end0-fft_rtc_fwd_len528_factors_4_4_3_11_wgs_48_tpt_48_halfLds_sp_op_CI_CI_unitstride_sbrr_C2R_dirReg
                                        ; -- End function
	.section	.AMDGPU.csdata,"",@progbits
; Kernel info:
; codeLenInByte = 7244
; NumSgprs: 32
; NumVgprs: 56
; ScratchSize: 0
; MemoryBound: 0
; FloatMode: 240
; IeeeMode: 1
; LDSByteSize: 0 bytes/workgroup (compile time only)
; SGPRBlocks: 3
; VGPRBlocks: 13
; NumSGPRsForWavesPerEU: 32
; NumVGPRsForWavesPerEU: 56
; Occupancy: 4
; WaveLimiterHint : 1
; COMPUTE_PGM_RSRC2:SCRATCH_EN: 0
; COMPUTE_PGM_RSRC2:USER_SGPR: 6
; COMPUTE_PGM_RSRC2:TRAP_HANDLER: 0
; COMPUTE_PGM_RSRC2:TGID_X_EN: 1
; COMPUTE_PGM_RSRC2:TGID_Y_EN: 0
; COMPUTE_PGM_RSRC2:TGID_Z_EN: 0
; COMPUTE_PGM_RSRC2:TIDIG_COMP_CNT: 0
	.type	__hip_cuid_a4c5c93050fbca6b,@object ; @__hip_cuid_a4c5c93050fbca6b
	.section	.bss,"aw",@nobits
	.globl	__hip_cuid_a4c5c93050fbca6b
__hip_cuid_a4c5c93050fbca6b:
	.byte	0                               ; 0x0
	.size	__hip_cuid_a4c5c93050fbca6b, 1

	.ident	"AMD clang version 19.0.0git (https://github.com/RadeonOpenCompute/llvm-project roc-6.4.0 25133 c7fe45cf4b819c5991fe208aaa96edf142730f1d)"
	.section	".note.GNU-stack","",@progbits
	.addrsig
	.addrsig_sym __hip_cuid_a4c5c93050fbca6b
	.amdgpu_metadata
---
amdhsa.kernels:
  - .args:
      - .actual_access:  read_only
        .address_space:  global
        .offset:         0
        .size:           8
        .value_kind:     global_buffer
      - .offset:         8
        .size:           8
        .value_kind:     by_value
      - .actual_access:  read_only
        .address_space:  global
        .offset:         16
        .size:           8
        .value_kind:     global_buffer
      - .actual_access:  read_only
        .address_space:  global
        .offset:         24
        .size:           8
        .value_kind:     global_buffer
      - .actual_access:  read_only
        .address_space:  global
        .offset:         32
        .size:           8
        .value_kind:     global_buffer
      - .offset:         40
        .size:           8
        .value_kind:     by_value
      - .actual_access:  read_only
        .address_space:  global
        .offset:         48
        .size:           8
        .value_kind:     global_buffer
      - .actual_access:  read_only
        .address_space:  global
        .offset:         56
        .size:           8
        .value_kind:     global_buffer
      - .offset:         64
        .size:           4
        .value_kind:     by_value
      - .actual_access:  read_only
        .address_space:  global
        .offset:         72
        .size:           8
        .value_kind:     global_buffer
      - .actual_access:  read_only
        .address_space:  global
        .offset:         80
        .size:           8
        .value_kind:     global_buffer
      - .actual_access:  read_only
        .address_space:  global
        .offset:         88
        .size:           8
        .value_kind:     global_buffer
      - .actual_access:  write_only
        .address_space:  global
        .offset:         96
        .size:           8
        .value_kind:     global_buffer
    .group_segment_fixed_size: 0
    .kernarg_segment_align: 8
    .kernarg_segment_size: 104
    .language:       OpenCL C
    .language_version:
      - 2
      - 0
    .max_flat_workgroup_size: 48
    .name:           fft_rtc_fwd_len528_factors_4_4_3_11_wgs_48_tpt_48_halfLds_sp_op_CI_CI_unitstride_sbrr_C2R_dirReg
    .private_segment_fixed_size: 0
    .sgpr_count:     32
    .sgpr_spill_count: 0
    .symbol:         fft_rtc_fwd_len528_factors_4_4_3_11_wgs_48_tpt_48_halfLds_sp_op_CI_CI_unitstride_sbrr_C2R_dirReg.kd
    .uniform_work_group_size: 1
    .uses_dynamic_stack: false
    .vgpr_count:     56
    .vgpr_spill_count: 0
    .wavefront_size: 64
amdhsa.target:   amdgcn-amd-amdhsa--gfx906
amdhsa.version:
  - 1
  - 2
...

	.end_amdgpu_metadata
